;; amdgpu-corpus repo=zjin-lcf/HeCBench kind=compiled arch=gfx1250 opt=O3
	.amdgcn_target "amdgcn-amd-amdhsa--gfx1250"
	.amdhsa_code_object_version 6
	.text
	.protected	_Z19tausworthe_lookbackjPKjPfS1_PKfS3_S3_S3_S3_S3_S3_ ; -- Begin function _Z19tausworthe_lookbackjPKjPfS1_PKfS3_S3_S3_S3_S3_S3_
	.globl	_Z19tausworthe_lookbackjPKjPfS1_PKfS3_S3_S3_S3_S3_S3_
	.p2align	8
	.type	_Z19tausworthe_lookbackjPKjPfS1_PKfS3_S3_S3_S3_S3_S3_,@function
_Z19tausworthe_lookbackjPKjPfS1_PKfS3_S3_S3_S3_S3_S3_: ; @_Z19tausworthe_lookbackjPKjPfS1_PKfS3_S3_S3_S3_S3_S3_
; %bb.0:
	s_load_b32 s2, s[0:1], 0x64
	s_bfe_u32 s3, ttmp6, 0x4000c
	s_and_b32 s12, ttmp6, 15
	s_add_co_i32 s3, s3, 1
	s_getreg_b32 s13, hwreg(HW_REG_IB_STS2, 6, 4)
	s_mul_i32 s3, ttmp9, s3
	s_load_b256 s[4:11], s[0:1], 0x8
	s_add_co_i32 s12, s12, s3
	v_dual_mov_b32 v15, 0 :: v_dual_mov_b32 v14, 0
	v_lshlrev_b32_e32 v17, 2, v0
	s_wait_kmcnt 0x0
	s_and_b32 s2, s2, 0xffff
	s_cmp_eq_u32 s13, 0
	s_cselect_b32 s3, ttmp9, s12
	s_clause 0x1
	s_load_b256 s[12:19], s[0:1], 0x28
	s_load_b128 s[20:23], s[0:1], 0x48
	v_mad_u32 v2, s3, s2, v0
	s_load_b32 s3, s[0:1], 0x0
	s_delay_alu instid0(VALU_DEP_1)
	v_add_nc_u32_e32 v3, 0x100000, v2
	v_add_nc_u32_e32 v7, 0x200000, v2
	;; [unrolled: 1-line block ×3, first 2 shown]
	s_clause 0x4
	global_load_b32 v16, v3, s[4:5] scale_offset
	global_load_b32 v18, v7, s[4:5] scale_offset
	;; [unrolled: 1-line block ×5, first 2 shown]
	s_wait_kmcnt 0x0
	s_clause 0x5
	global_load_b32 v10, v2, s[12:13] scale_offset
	global_load_b32 v11, v2, s[14:15] scale_offset
	;; [unrolled: 1-line block ×6, first 2 shown]
	s_wait_xcnt 0x9
	v_mov_b32_e32 v7, 0
	s_cmp_lg_u32 s3, 0
	s_wait_xcnt 0x5
	s_mov_b32 s12, 1
	s_cselect_b32 s10, -1, 0
	s_and_b32 s11, s3, 7
	s_cmp_gt_u32 s3, 7
	v_mov_b32_e32 v3, v7
	s_cselect_b32 s13, -1, 0
	s_wait_xcnt 0x4
	s_and_b32 s14, s3, -8
	s_cmp_lg_u32 s11, 0
	s_wait_xcnt 0x3
	s_mov_b32 s16, 0x19660d
	s_cselect_b32 s15, -1, 0
	s_mov_b32 s17, 0x17385ca9
	s_mov_b64 s[4:5], 0xfe5163ab
	s_wait_xcnt 0x2
	s_mov_b32 s18, 0x7fffff
	s_mov_b32 s19, 0xb94c1982
	s_wait_xcnt 0x1
	s_mov_b32 s20, 0x37d75334
	s_and_not1_b32 vcc_lo, exec_lo, s10
	s_cbranch_vccz .LBB0_3
	s_branch .LBB0_2
.LBB0_1:
	v_mov_b32_e32 v23, v21
	s_and_not1_b32 vcc_lo, exec_lo, s10
	s_cbranch_vccz .LBB0_3
.LBB0_2:
	s_wait_loadcnt 0x8
	s_delay_alu instid0(VALU_DEP_1)
	v_dual_mov_b32 v8, v7 :: v_dual_mov_b32 v21, v23
	s_branch .LBB0_23
.LBB0_3:
	v_dual_mov_b32 v22, v17 :: v_dual_mov_b32 v20, v0
	s_wait_loadcnt 0x1
	v_dual_mov_b32 v19, v12 :: v_dual_mov_b32 v8, v10
	v_mov_b32_e32 v9, v1
	s_mov_b32 s21, 0
                                        ; implicit-def: $vgpr24
.LBB0_4:                                ; =>This Inner Loop Header: Depth=1
	s_delay_alu instid0(SALU_CYCLE_1) | instskip(SKIP_2) | instid1(SALU_CYCLE_1)
	s_bitcmp1_b32 s21, 0
	ds_store_b32 v22, v19
	s_cselect_b32 s0, -1, 0
	s_and_b32 vcc_lo, exec_lo, s0
	s_cbranch_vccnz .LBB0_11
; %bb.5:                                ;   in Loop: Header=BB0_4 Depth=1
	v_dual_lshlrev_b32 v21, 3, v18 :: v_dual_lshlrev_b32 v26, 17, v18
	v_dual_lshlrev_b32 v24, 13, v6 :: v_dual_lshlrev_b32 v25, 12, v6
	s_delay_alu instid0(VALU_DEP_2) | instskip(NEXT) | instid1(VALU_DEP_2)
	v_dual_lshlrev_b32 v29, 6, v16 :: v_dual_bitop2_b32 v18, v21, v18 bitop3:0x14
	v_dual_lshlrev_b32 v21, 2, v16 :: v_dual_bitop2_b32 v6, v24, v6 bitop3:0x14
	v_lshlrev_b32_e32 v24, 4, v16
	v_and_b32_e32 v26, 0xffe00000, v26
	s_delay_alu instid0(VALU_DEP_3) | instskip(NEXT) | instid1(VALU_DEP_4)
	v_dual_lshrrev_b32 v30, 11, v18 :: v_dual_bitop2_b32 v16, v21, v16 bitop3:0x14
	v_lshrrev_b32_e32 v6, 19, v6
	v_mad_u32 v21, v23, s17, 0x47502932
	s_delay_alu instid0(VALU_DEP_3) | instskip(NEXT) | instid1(VALU_DEP_3)
	v_dual_lshrrev_b32 v16, 25, v16 :: v_dual_bitop2_b32 v27, v30, v26 bitop3:0x54
	v_and_or_b32 v28, 0xffffe000, v25, v6
	s_delay_alu instid0(VALU_DEP_2) | instskip(NEXT) | instid1(VALU_DEP_3)
	v_dual_lshlrev_b32 v31, 3, v27 :: v_dual_bitop2_b32 v6, v29, v24 bitop3:0x14
	v_and_or_b32 v29, 0xffffff80, v24, v16
	s_delay_alu instid0(VALU_DEP_2) | instskip(SKIP_1) | instid1(VALU_DEP_4)
	v_dual_lshlrev_b32 v32, 13, v28 :: v_dual_lshrrev_b32 v6, 25, v6
	v_lshlrev_b32_e32 v16, 12, v28
	v_bitop3_b32 v26, v31, v30, v26 bitop3:0x1e
	s_delay_alu instid0(VALU_DEP_4) | instskip(NEXT) | instid1(VALU_DEP_4)
	v_dual_lshlrev_b32 v18, 6, v18 :: v_dual_lshlrev_b32 v30, 4, v29
	v_xor_b32_e32 v25, v32, v25
	s_delay_alu instid0(VALU_DEP_4) | instskip(NEXT) | instid1(VALU_DEP_4)
	v_and_b32_e32 v24, 0xffffe000, v16
	v_lshrrev_b32_e32 v26, 11, v26
                                        ; implicit-def: $vgpr31
	s_delay_alu instid0(VALU_DEP_4) | instskip(NEXT) | instid1(VALU_DEP_4)
	v_and_or_b32 v16, 0xffffff80, v30, v6
	v_lshrrev_b32_e32 v25, 19, v25
	s_delay_alu instid0(VALU_DEP_3) | instskip(NEXT) | instid1(VALU_DEP_2)
	v_and_or_b32 v18, 0xffe00000, v18, v26
	v_bitop3_b32 v6, v25, v21, v24 bitop3:0x36
	s_delay_alu instid0(VALU_DEP_1) | instskip(NEXT) | instid1(VALU_DEP_1)
	v_xor3_b32 v6, v6, v16, v18
	v_cvt_f32_u32_e32 v6, v6
	s_delay_alu instid0(VALU_DEP_1) | instskip(NEXT) | instid1(VALU_DEP_1)
	v_mul_f32_e32 v6, 0x2f800000, v6
	v_mul_f32_e32 v26, 0x40c90fdb, v6
	s_delay_alu instid0(VALU_DEP_1) | instskip(SKIP_2) | instid1(VALU_DEP_3)
	v_lshrrev_b32_e32 v30, 23, v26
	v_cmp_ngt_f32_e32 vcc_lo, 0x48000000, v26
	v_and_or_b32 v6, v26, s18, 0x800000
	v_add_nc_u32_e32 v32, 0xffffff88, v30
                                        ; implicit-def: $vgpr30
	s_wait_xcnt 0x0
	s_and_saveexec_b32 s0, vcc_lo
	s_delay_alu instid0(SALU_CYCLE_1)
	s_xor_b32 s22, exec_lo, s0
	s_cbranch_execz .LBB0_7
; %bb.6:                                ;   in Loop: Header=BB0_4 Depth=1
	v_mul_u64_e32 v[30:31], s[4:5], v[6:7]
	v_mov_b32_e32 v35, v7
	v_cmp_lt_u32_e64 s0, 63, v32
	s_delay_alu instid0(VALU_DEP_3) | instskip(NEXT) | instid1(VALU_DEP_2)
	v_mov_b32_e32 v34, v31
	v_cndmask_b32_e64 v31, 0, 0xffffffc0, s0
	s_delay_alu instid0(VALU_DEP_2) | instskip(NEXT) | instid1(VALU_DEP_1)
	v_mad_nc_u64_u32 v[34:35], 0x3c439041, v6, v[34:35]
	v_dual_mov_b32 v37, v7 :: v_dual_mov_b32 v36, v35
	s_delay_alu instid0(VALU_DEP_1) | instskip(NEXT) | instid1(VALU_DEP_1)
	v_mad_nc_u64_u32 v[36:37], 0xdb629599, v6, v[36:37]
	v_dual_mov_b32 v39, v7 :: v_dual_mov_b32 v38, v37
	s_delay_alu instid0(VALU_DEP_2) | instskip(NEXT) | instid1(VALU_DEP_2)
	v_cndmask_b32_e64 v30, v36, v30, s0
	v_mad_nc_u64_u32 v[38:39], 0xf534ddc0, v6, v[38:39]
	s_delay_alu instid0(VALU_DEP_1) | instskip(NEXT) | instid1(VALU_DEP_1)
	v_dual_mov_b32 v41, v7 :: v_dual_mov_b32 v40, v39
	v_mad_nc_u64_u32 v[40:41], 0xfc2757d1, v6, v[40:41]
	s_delay_alu instid0(VALU_DEP_1) | instskip(NEXT) | instid1(VALU_DEP_1)
	v_dual_mov_b32 v43, v7 :: v_dual_mov_b32 v42, v41
	v_mad_nc_u64_u32 v[42:43], 0x4e441529, v6, v[42:43]
	v_add_nc_u32_e32 v31, v31, v32
	s_delay_alu instid0(VALU_DEP_2) | instskip(NEXT) | instid1(VALU_DEP_3)
	v_dual_mov_b32 v45, v7 :: v_dual_mov_b32 v44, v43
	v_cndmask_b32_e64 v35, v42, v38, s0
	s_delay_alu instid0(VALU_DEP_3) | instskip(NEXT) | instid1(VALU_DEP_3)
	v_cmp_lt_u32_e64 s1, 31, v31
	v_mad_nc_u64_u32 v[44:45], 0xa2f9836e, v6, v[44:45]
	s_delay_alu instid0(VALU_DEP_2) | instskip(NEXT) | instid1(VALU_DEP_1)
	v_cndmask_b32_e64 v33, 0, 0xffffffe0, s1
	v_dual_add_nc_u32 v31, v33, v31 :: v_dual_cndmask_b32 v37, v44, v40, s0
	s_delay_alu instid0(VALU_DEP_1) | instskip(NEXT) | instid1(VALU_DEP_4)
	v_cmp_lt_u32_e64 s2, 31, v31
	v_dual_cndmask_b32 v39, v45, v42, s0 :: v_dual_cndmask_b32 v40, v40, v36, s0
	s_delay_alu instid0(VALU_DEP_2) | instskip(NEXT) | instid1(VALU_DEP_1)
	v_cndmask_b32_e64 v33, 0, 0xffffffe0, s2
	v_dual_add_nc_u32 v31, v33, v31 :: v_dual_cndmask_b32 v33, v38, v34, s0
	s_delay_alu instid0(VALU_DEP_3) | instskip(NEXT) | instid1(VALU_DEP_2)
	v_dual_cndmask_b32 v34, v37, v35, s1 :: v_dual_cndmask_b32 v37, v39, v37, s1
	v_dual_cndmask_b32 v35, v35, v40, s1 :: v_dual_sub_nc_u32 v38, 32, v31
	s_delay_alu instid0(VALU_DEP_3) | instskip(SKIP_1) | instid1(VALU_DEP_3)
	v_cndmask_b32_e64 v39, v40, v33, s1
	v_cmp_eq_u32_e64 s0, 0, v31
	v_dual_cndmask_b32 v37, v37, v34, s2 :: v_dual_cndmask_b32 v34, v34, v35, s2
	v_cndmask_b32_e64 v30, v33, v30, s1
	s_delay_alu instid0(VALU_DEP_2) | instskip(NEXT) | instid1(VALU_DEP_1)
	v_alignbit_b32 v40, v37, v34, v38
	v_dual_cndmask_b32 v35, v35, v39, s2 :: v_dual_cndmask_b32 v31, v40, v37, s0
	s_delay_alu instid0(VALU_DEP_1) | instskip(NEXT) | instid1(VALU_DEP_1)
	v_alignbit_b32 v36, v34, v35, v38
	v_cndmask_b32_e64 v33, v36, v34, s0
	s_delay_alu instid0(VALU_DEP_3) | instskip(NEXT) | instid1(VALU_DEP_1)
	v_bfe_u32 v34, v31, 29, 1
	v_sub_nc_u32_e32 v37, 0, v34
	s_delay_alu instid0(VALU_DEP_3) | instskip(NEXT) | instid1(VALU_DEP_1)
	v_alignbit_b32 v36, v31, v33, 30
	v_dual_cndmask_b32 v30, v39, v30, s2 :: v_dual_bitop2_b32 v36, v36, v37 bitop3:0x14
	s_delay_alu instid0(VALU_DEP_1) | instskip(NEXT) | instid1(VALU_DEP_1)
	v_alignbit_b32 v38, v35, v30, v38
	v_cndmask_b32_e64 v35, v38, v35, s0
	s_delay_alu instid0(VALU_DEP_3) | instskip(NEXT) | instid1(VALU_DEP_2)
	v_clz_i32_u32_e32 v38, v36
	v_alignbit_b32 v33, v33, v35, 30
	s_delay_alu instid0(VALU_DEP_2) | instskip(SKIP_1) | instid1(VALU_DEP_2)
	v_min_u32_e32 v38, 32, v38
	v_alignbit_b32 v30, v35, v30, 30
	v_dual_sub_nc_u32 v35, 31, v38 :: v_dual_bitop2_b32 v33, v33, v37 bitop3:0x14
	s_delay_alu instid0(VALU_DEP_2) | instskip(SKIP_1) | instid1(VALU_DEP_3)
	v_dual_lshrrev_b32 v37, 29, v31 :: v_dual_bitop2_b32 v30, v30, v37 bitop3:0x14
	v_dual_lshlrev_b32 v39, 23, v38 :: v_dual_lshrrev_b32 v31, 30, v31
	v_alignbit_b32 v36, v36, v33, v35
	s_delay_alu instid0(VALU_DEP_3) | instskip(NEXT) | instid1(VALU_DEP_3)
	v_alignbit_b32 v30, v33, v30, v35
	v_dual_lshlrev_b32 v33, 31, v37 :: v_dual_add_nc_u32 v31, v34, v31
	s_delay_alu instid0(VALU_DEP_2) | instskip(NEXT) | instid1(VALU_DEP_2)
	v_alignbit_b32 v35, v36, v30, 9
	v_dual_lshrrev_b32 v36, 9, v36 :: v_dual_bitop2_b32 v37, 0.5, v33 bitop3:0x54
	v_or_b32_e32 v33, 0x33000000, v33
	s_delay_alu instid0(VALU_DEP_3) | instskip(NEXT) | instid1(VALU_DEP_3)
	v_clz_i32_u32_e32 v40, v35
	v_sub_nc_u32_e32 v37, v37, v39
	s_delay_alu instid0(VALU_DEP_2) | instskip(NEXT) | instid1(VALU_DEP_1)
	v_min_u32_e32 v39, 32, v40
	v_add_lshl_u32 v38, v39, v38, 23
	s_delay_alu instid0(VALU_DEP_3) | instskip(SKIP_1) | instid1(VALU_DEP_2)
	v_or_b32_e32 v36, v36, v37
	v_not_b32_e32 v37, v39
	v_dual_mul_f32 v40, 0x3fc90fda, v36 :: v_dual_sub_nc_u32 v33, v33, v38
	s_delay_alu instid0(VALU_DEP_2) | instskip(NEXT) | instid1(VALU_DEP_2)
	v_alignbit_b32 v30, v35, v30, v37
	v_fma_f32 v35, 0x3fc90fda, v36, -v40
	s_delay_alu instid0(VALU_DEP_1) | instskip(NEXT) | instid1(VALU_DEP_1)
	v_dual_fmac_f32 v35, 0x33a22168, v36 :: v_dual_lshrrev_b32 v30, 9, v30
	v_or_b32_e32 v30, v33, v30
	s_delay_alu instid0(VALU_DEP_1) | instskip(NEXT) | instid1(VALU_DEP_1)
	v_fmac_f32_e32 v35, 0x3fc90fda, v30
	v_add_f32_e32 v30, v40, v35
.LBB0_7:                                ;   in Loop: Header=BB0_4 Depth=1
	s_or_saveexec_b32 s0, s22
	v_mul_f32_e32 v33, 0x3f22f983, v26
	s_delay_alu instid0(VALU_DEP_1)
	v_rndne_f32_e32 v35, v33
	s_xor_b32 exec_lo, exec_lo, s0
; %bb.8:                                ;   in Loop: Header=BB0_4 Depth=1
	s_delay_alu instid0(VALU_DEP_1) | instskip(SKIP_1) | instid1(VALU_DEP_2)
	v_fmamk_f32 v30, v35, 0xbfc90fda, v26
	v_cvt_i32_f32_e32 v31, v35
	v_fmac_f32_e32 v30, 0xb3a22168, v35
	s_delay_alu instid0(VALU_DEP_1)
	v_fmac_f32_e32 v30, 0xa7c234c4, v35
; %bb.9:                                ;   in Loop: Header=BB0_4 Depth=1
	s_or_b32 exec_lo, exec_lo, s0
                                        ; implicit-def: $vgpr34
                                        ; implicit-def: $vgpr33
	s_and_saveexec_b32 s0, vcc_lo
	s_delay_alu instid0(SALU_CYCLE_1)
	s_xor_b32 s2, exec_lo, s0
	s_cbranch_execz .LBB0_12
; %bb.10:                               ;   in Loop: Header=BB0_4 Depth=1
	v_mul_u64_e32 v[34:35], s[4:5], v[6:7]
	v_mov_b32_e32 v37, v7
	v_cmp_lt_u32_e32 vcc_lo, 63, v32
	v_cndmask_b32_e64 v33, 0, 0xffffffc0, vcc_lo
	s_delay_alu instid0(VALU_DEP_1) | instskip(SKIP_1) | instid1(VALU_DEP_2)
	v_dual_mov_b32 v36, v35 :: v_dual_add_nc_u32 v35, v33, v32
	v_mov_b32_e32 v33, v7
	v_mad_nc_u64_u32 v[36:37], 0x3c439041, v6, v[36:37]
	v_mov_b32_e32 v39, v7
	s_delay_alu instid0(VALU_DEP_4) | instskip(NEXT) | instid1(VALU_DEP_3)
	v_cmp_lt_u32_e64 s0, 31, v35
	v_mov_b32_e32 v38, v37
	s_delay_alu instid0(VALU_DEP_2) | instskip(NEXT) | instid1(VALU_DEP_2)
	v_cndmask_b32_e64 v37, 0, 0xffffffe0, s0
	v_mad_nc_u64_u32 v[38:39], 0xdb629599, v6, v[38:39]
	s_delay_alu instid0(VALU_DEP_1) | instskip(NEXT) | instid1(VALU_DEP_1)
	v_dual_mov_b32 v41, v7 :: v_dual_mov_b32 v40, v39
	v_mad_nc_u64_u32 v[40:41], 0xf534ddc0, v6, v[40:41]
	s_delay_alu instid0(VALU_DEP_1) | instskip(NEXT) | instid1(VALU_DEP_1)
	v_dual_mov_b32 v43, v7 :: v_dual_mov_b32 v42, v41
	v_mad_nc_u64_u32 v[42:43], 0xfc2757d1, v6, v[42:43]
	s_delay_alu instid0(VALU_DEP_1) | instskip(NEXT) | instid1(VALU_DEP_2)
	v_dual_mov_b32 v45, v7 :: v_dual_mov_b32 v44, v43
	v_cndmask_b32_e32 v39, v42, v38, vcc_lo
	s_delay_alu instid0(VALU_DEP_2) | instskip(NEXT) | instid1(VALU_DEP_1)
	v_mad_nc_u64_u32 v[44:45], 0x4e441529, v6, v[44:45]
	v_mov_b32_e32 v32, v45
	s_delay_alu instid0(VALU_DEP_1) | instskip(NEXT) | instid1(VALU_DEP_3)
	v_mad_nc_u64_u32 v[32:33], 0xa2f9836e, v6, v[32:33]
	v_dual_cndmask_b32 v37, v44, v40 :: v_dual_add_nc_u32 v6, v37, v35
	s_delay_alu instid0(VALU_DEP_2) | instskip(NEXT) | instid1(VALU_DEP_2)
	v_cndmask_b32_e32 v32, v32, v42, vcc_lo
	v_cmp_lt_u32_e64 s1, 31, v6
	s_delay_alu instid0(VALU_DEP_4) | instskip(NEXT) | instid1(VALU_DEP_2)
	v_cndmask_b32_e32 v33, v33, v44, vcc_lo
	v_cndmask_b32_e64 v35, 0, 0xffffffe0, s1
	s_delay_alu instid0(VALU_DEP_1) | instskip(NEXT) | instid1(VALU_DEP_3)
	v_dual_cndmask_b32 v35, v40, v36 :: v_dual_add_nc_u32 v6, v35, v6
	v_dual_cndmask_b32 v36, v32, v37, s0 :: v_dual_cndmask_b32 v32, v33, v32, s0
	s_delay_alu instid0(VALU_DEP_2) | instskip(NEXT) | instid1(VALU_DEP_2)
	v_dual_cndmask_b32 v33, v37, v39, s0 :: v_dual_sub_nc_u32 v37, 32, v6
	v_dual_cndmask_b32 v39, v39, v35, s0 :: v_dual_cndmask_b32 v32, v32, v36, s1
	s_delay_alu instid0(VALU_DEP_1) | instskip(NEXT) | instid1(VALU_DEP_1)
	v_dual_cndmask_b32 v36, v36, v33, s1 :: v_dual_cndmask_b32 v33, v33, v39, s1
	v_alignbit_b32 v40, v32, v36, v37
	v_cndmask_b32_e32 v34, v38, v34, vcc_lo
	v_cmp_eq_u32_e32 vcc_lo, 0, v6
	s_delay_alu instid0(VALU_DEP_4) | instskip(NEXT) | instid1(VALU_DEP_3)
	v_alignbit_b32 v38, v36, v33, v37
	v_dual_cndmask_b32 v6, v40, v32, vcc_lo :: v_dual_cndmask_b32 v32, v35, v34, s0
	s_delay_alu instid0(VALU_DEP_2) | instskip(NEXT) | instid1(VALU_DEP_2)
	v_cndmask_b32_e32 v34, v38, v36, vcc_lo
	v_bfe_u32 v35, v6, 29, 1
	s_delay_alu instid0(VALU_DEP_3) | instskip(NEXT) | instid1(VALU_DEP_3)
	v_cndmask_b32_e64 v32, v39, v32, s1
	v_alignbit_b32 v36, v6, v34, 30
	s_delay_alu instid0(VALU_DEP_3) | instskip(NEXT) | instid1(VALU_DEP_3)
	v_sub_nc_u32_e32 v38, 0, v35
	v_alignbit_b32 v37, v33, v32, v37
	s_delay_alu instid0(VALU_DEP_1) | instskip(NEXT) | instid1(VALU_DEP_1)
	v_dual_cndmask_b32 v33, v37, v33, vcc_lo :: v_dual_bitop2_b32 v36, v36, v38 bitop3:0x14
	v_clz_i32_u32_e32 v37, v36
	s_delay_alu instid0(VALU_DEP_2) | instskip(SKIP_1) | instid1(VALU_DEP_3)
	v_alignbit_b32 v34, v34, v33, 30
	v_alignbit_b32 v32, v33, v32, 30
	v_min_u32_e32 v37, 32, v37
	s_delay_alu instid0(VALU_DEP_3) | instskip(NEXT) | instid1(VALU_DEP_3)
	v_xor_b32_e32 v33, v34, v38
	v_xor_b32_e32 v32, v32, v38
	v_dual_lshrrev_b32 v38, 29, v6 :: v_dual_lshrrev_b32 v6, 30, v6
	s_delay_alu instid0(VALU_DEP_4) | instskip(NEXT) | instid1(VALU_DEP_1)
	v_dual_sub_nc_u32 v34, 31, v37 :: v_dual_lshlrev_b32 v39, 23, v37
	v_alignbit_b32 v36, v36, v33, v34
	s_delay_alu instid0(VALU_DEP_4) | instskip(NEXT) | instid1(VALU_DEP_4)
	v_alignbit_b32 v32, v33, v32, v34
	v_lshlrev_b32_e32 v33, 31, v38
	s_delay_alu instid0(VALU_DEP_2) | instskip(NEXT) | instid1(VALU_DEP_2)
	v_alignbit_b32 v34, v36, v32, 9
	v_dual_lshrrev_b32 v36, 9, v36 :: v_dual_bitop2_b32 v38, 0.5, v33 bitop3:0x54
	v_or_b32_e32 v33, 0x33000000, v33
	s_delay_alu instid0(VALU_DEP_3) | instskip(NEXT) | instid1(VALU_DEP_3)
	v_clz_i32_u32_e32 v40, v34
	v_sub_nc_u32_e32 v38, v38, v39
	s_delay_alu instid0(VALU_DEP_2) | instskip(NEXT) | instid1(VALU_DEP_1)
	v_min_u32_e32 v39, 32, v40
	v_add_lshl_u32 v37, v39, v37, 23
	s_delay_alu instid0(VALU_DEP_1) | instskip(SKIP_1) | instid1(VALU_DEP_1)
	v_dual_sub_nc_u32 v33, v33, v37 :: v_dual_bitop2_b32 v36, v36, v38 bitop3:0x54
	v_not_b32_e32 v38, v39
	v_alignbit_b32 v32, v34, v32, v38
	s_delay_alu instid0(VALU_DEP_1) | instskip(NEXT) | instid1(VALU_DEP_4)
	v_lshrrev_b32_e32 v32, 9, v32
	v_mul_f32_e32 v40, 0x3fc90fda, v36
	s_delay_alu instid0(VALU_DEP_2) | instskip(NEXT) | instid1(VALU_DEP_2)
	v_or_b32_e32 v32, v33, v32
	v_fma_f32 v34, 0x3fc90fda, v36, -v40
	s_delay_alu instid0(VALU_DEP_1) | instskip(NEXT) | instid1(VALU_DEP_1)
	v_fmac_f32_e32 v34, 0x33a22168, v36
	v_fmac_f32_e32 v34, 0x3fc90fda, v32
	s_delay_alu instid0(VALU_DEP_1)
	v_add_f32_e32 v33, v40, v34
	v_add_nc_u32_e32 v34, v35, v6
                                        ; implicit-def: $vgpr35
	s_and_not1_saveexec_b32 s0, s2
	s_cbranch_execnz .LBB0_13
	s_branch .LBB0_14
.LBB0_11:                               ;   in Loop: Header=BB0_4 Depth=1
	v_dual_mov_b32 v25, v24 :: v_dual_mov_b32 v21, v23
	s_branch .LBB0_15
.LBB0_12:                               ;   in Loop: Header=BB0_4 Depth=1
	s_and_not1_saveexec_b32 s0, s2
.LBB0_13:                               ;   in Loop: Header=BB0_4 Depth=1
	v_fmamk_f32 v33, v35, 0xbfc90fda, v26
	v_cvt_i32_f32_e32 v34, v35
	s_delay_alu instid0(VALU_DEP_2) | instskip(NEXT) | instid1(VALU_DEP_1)
	v_fmac_f32_e32 v33, 0xb3a22168, v35
	v_fmac_f32_e32 v33, 0xa7c234c4, v35
.LBB0_14:                               ;   in Loop: Header=BB0_4 Depth=1
	s_or_b32 exec_lo, exec_lo, s0
	v_mad_u32 v6, v23, s16, 0x3c6ef35f
	v_xor_b32_e32 v23, v29, v28
	v_dual_mul_f32 v29, v30, v30 :: v_dual_bitop2_b32 v28, 1, v31 bitop3:0x40
	v_lshlrev_b32_e32 v32, 30, v34
	s_delay_alu instid0(VALU_DEP_3) | instskip(NEXT) | instid1(VALU_DEP_1)
	v_xor3_b32 v6, v23, v6, v27
	v_cvt_f32_u32_e32 v6, v6
	s_delay_alu instid0(VALU_DEP_1) | instskip(NEXT) | instid1(VALU_DEP_1)
	v_mul_f32_e32 v6, 0x2f800000, v6
	v_cmp_gt_f32_e32 vcc_lo, 0x800000, v6
	v_cndmask_b32_e64 v23, 0, 32, vcc_lo
	v_cndmask_b32_e64 v27, 0, 0x41b17218, vcc_lo
	s_delay_alu instid0(VALU_DEP_2) | instskip(NEXT) | instid1(VALU_DEP_1)
	v_ldexp_f32 v6, v6, v23
	v_log_f32_e32 v6, v6
	v_nop
	s_delay_alu instid0(TRANS32_DEP_1) | instskip(SKIP_1) | instid1(VALU_DEP_2)
	v_mul_f32_e32 v23, 0x3f317217, v6
	v_cmp_gt_f32_e64 vcc_lo, 0x7f800000, |v6|
	v_fma_f32 v23, 0x3f317217, v6, -v23
	s_delay_alu instid0(VALU_DEP_1) | instskip(NEXT) | instid1(VALU_DEP_1)
	v_fmac_f32_e32 v23, 0x3377d1cf, v6
	v_fmac_f32_e32 v23, 0x3f317217, v6
	s_delay_alu instid0(VALU_DEP_1) | instskip(SKIP_1) | instid1(VALU_DEP_2)
	v_cndmask_b32_e32 v6, v6, v23, vcc_lo
	v_dual_lshlrev_b32 v23, 30, v31 :: v_dual_mul_f32 v31, v33, v33
	v_dual_fmaak_f32 v35, s20, v29, 0xbab64f3b :: v_dual_sub_f32 v6, v6, v27
	s_delay_alu instid0(VALU_DEP_2) | instskip(NEXT) | instid1(VALU_DEP_3)
	v_bitop3_b32 v23, v23, v26, 0x80000000 bitop3:0x6c
	v_fmaak_f32 v37, s19, v31, 0x3c0881c4
	v_fmaak_f32 v38, s20, v31, 0xbab64f3b
	s_delay_alu instid0(VALU_DEP_4) | instskip(NEXT) | instid1(VALU_DEP_3)
	v_dual_fmaak_f32 v35, v29, v35, 0x3d2aabf7 :: v_dual_mul_f32 v6, -2.0, v6
	v_fmaak_f32 v37, v31, v37, 0xbe2aaa9d
	s_delay_alu instid0(VALU_DEP_3) | instskip(NEXT) | instid1(VALU_DEP_3)
	v_fmaak_f32 v38, v31, v38, 0x3d2aabf7
	v_fmaak_f32 v35, v29, v35, 0xbf000004
	s_delay_alu instid0(VALU_DEP_4) | instskip(SKIP_1) | instid1(VALU_DEP_4)
	v_cmp_gt_f32_e32 vcc_lo, 0xf800000, v6
	v_mul_f32_e32 v27, 0x4f800000, v6
	v_fmaak_f32 v38, v31, v38, 0xbf000004
	s_delay_alu instid0(VALU_DEP_2) | instskip(SKIP_1) | instid1(VALU_DEP_2)
	v_dual_cndmask_b32 v6, v6, v27, vcc_lo :: v_dual_bitop2_b32 v27, 1, v34 bitop3:0x40
	v_fmaak_f32 v34, s19, v29, 0x3c0881c4
	v_sqrt_f32_e32 v36, v6
	v_nop
	s_delay_alu instid0(TRANS32_DEP_1) | instskip(NEXT) | instid1(VALU_DEP_1)
	v_dual_fmaak_f32 v34, v29, v34, 0xbe2aaa9d :: v_dual_add_nc_u32 v39, -1, v36
	v_dual_mul_f32 v34, v29, v34 :: v_dual_add_nc_u32 v40, 1, v36
	v_mul_f32_e32 v37, v31, v37
	v_fma_f32 v29, v29, v35, 1.0
	s_delay_alu instid0(VALU_DEP_4) | instskip(NEXT) | instid1(VALU_DEP_4)
	v_fma_f32 v41, -v39, v36, v6
	v_fmac_f32_e32 v30, v30, v34
	v_fma_f32 v34, -v40, v36, v6
	v_fma_f32 v31, v31, v38, 1.0
	v_fmac_f32_e32 v33, v33, v37
	v_cmp_ge_f32_e64 s0, 0, v41
	s_delay_alu instid0(VALU_DEP_1) | instskip(SKIP_1) | instid1(VALU_DEP_1)
	v_cndmask_b32_e64 v36, v36, v39, s0
	v_cmp_lt_f32_e64 s0, 0, v34
	v_cndmask_b32_e64 v34, v36, v40, s0
	v_cmp_eq_u32_e64 s0, 0, v28
	s_delay_alu instid0(VALU_DEP_1) | instskip(SKIP_1) | instid1(VALU_DEP_4)
	v_cndmask_b32_e64 v28, v29, v30, s0
	v_cmp_eq_u32_e64 s0, 0, v27
	v_mul_f32_e32 v29, 0x37800000, v34
	s_delay_alu instid0(VALU_DEP_3) | instskip(NEXT) | instid1(VALU_DEP_2)
	v_xor3_b32 v23, v23, v28, v26
	v_dual_cndmask_b32 v28, v34, v29, vcc_lo :: v_dual_cndmask_b32 v27, -v33, v31, s0
	v_cmp_class_f32_e64 s0, v6, 0x260
	v_cmp_lg_f32_e32 vcc_lo, 0x7f800000, v26
	s_delay_alu instid0(VALU_DEP_2) | instskip(NEXT) | instid1(VALU_DEP_4)
	v_cndmask_b32_e64 v26, v28, v6, s0
	v_bitop3_b32 v27, v32, v27, 0x80000000 bitop3:0x6c
	v_cndmask_b32_e32 v23, 0x7fc00000, v23, vcc_lo
	v_or_b32_e32 v6, v25, v24
	s_delay_alu instid0(VALU_DEP_3) | instskip(NEXT) | instid1(VALU_DEP_3)
	v_cndmask_b32_e32 v27, 0x7fc00000, v27, vcc_lo
	v_mul_f32_e32 v25, v26, v23
	s_delay_alu instid0(VALU_DEP_2)
	v_mul_f32_e32 v24, v26, v27
.LBB0_15:                               ;   in Loop: Header=BB0_4 Depth=1
	v_pk_mul_f32 v[26:27], v[4:5], v[8:9]
	s_add_co_i32 s21, s21, 1
	v_add_nc_u32_e32 v22, 0x400, v22
	s_cmp_lg_u32 s3, s21
	v_add_nc_u32_e32 v20, 0x100, v20
	v_pk_mul_f32 v[8:9], v[8:9], v[26:27]
	s_delay_alu instid0(VALU_DEP_1) | instskip(NEXT) | instid1(VALU_DEP_1)
	v_add_f32_e32 v9, v11, v9
	v_add_f32_e32 v8, v8, v9
	s_delay_alu instid0(VALU_DEP_1) | instskip(SKIP_1) | instid1(VALU_DEP_2)
	v_mul_f32_e32 v9, 0x4f800000, v8
	v_cmp_gt_f32_e32 vcc_lo, 0xf800000, v8
	v_cndmask_b32_e32 v8, v8, v9, vcc_lo
	s_delay_alu instid0(VALU_DEP_1) | instskip(SKIP_1) | instid1(TRANS32_DEP_1)
	v_sqrt_f32_e32 v9, v8
	v_nop
	v_dual_add_nc_u32 v23, -1, v9 :: v_dual_add_nc_u32 v26, 1, v9
	s_delay_alu instid0(VALU_DEP_1) | instskip(NEXT) | instid1(VALU_DEP_1)
	v_dual_fma_f32 v27, -v23, v9, v8 :: v_dual_fma_f32 v28, -v26, v9, v8
	v_cmp_ge_f32_e64 s0, 0, v27
	s_delay_alu instid0(VALU_DEP_1) | instskip(NEXT) | instid1(VALU_DEP_3)
	v_cndmask_b32_e64 v9, v9, v23, s0
	v_cmp_lt_f32_e64 s0, 0, v28
	s_delay_alu instid0(VALU_DEP_1) | instskip(NEXT) | instid1(VALU_DEP_1)
	v_cndmask_b32_e64 v9, v9, v26, s0
	v_mul_f32_e32 v23, 0x37800000, v9
	s_delay_alu instid0(VALU_DEP_1) | instskip(SKIP_1) | instid1(VALU_DEP_2)
	v_cndmask_b32_e32 v9, v9, v23, vcc_lo
	v_cmp_class_f32_e64 vcc_lo, v8, 0x260
	v_cndmask_b32_e32 v9, v9, v8, vcc_lo
	s_delay_alu instid0(VALU_DEP_1) | instskip(NEXT) | instid1(VALU_DEP_1)
	v_mul_f32_e32 v8, v9, v25
	v_minmax_num_f32 v8, v8, 1.0, -1.0
	s_wait_loadcnt 0x0
	s_delay_alu instid0(VALU_DEP_1) | instskip(NEXT) | instid1(VALU_DEP_1)
	v_add_f32_e32 v23, v13, v8
	v_mul_f32_e32 v25, 0x3fb8aa3b, v23
	v_cmp_ngt_f32_e32 vcc_lo, 0xc2ce8ed0, v23
	s_delay_alu instid0(VALU_DEP_2) | instskip(SKIP_1) | instid1(VALU_DEP_2)
	v_fma_f32 v26, 0x3fb8aa3b, v23, -v25
	v_rndne_f32_e32 v27, v25
	v_fmac_f32_e32 v26, 0x32a5705f, v23
	s_delay_alu instid0(VALU_DEP_2) | instskip(NEXT) | instid1(VALU_DEP_1)
	v_sub_f32_e32 v25, v25, v27
	v_add_f32_e32 v25, v25, v26
	v_cvt_i32_f32_e32 v26, v27
	s_delay_alu instid0(VALU_DEP_2) | instskip(SKIP_1) | instid1(TRANS32_DEP_1)
	v_exp_f32_e32 v25, v25
	v_nop
	v_ldexp_f32 v25, v25, v26
	s_delay_alu instid0(VALU_DEP_1) | instskip(SKIP_1) | instid1(VALU_DEP_2)
	v_cndmask_b32_e32 v25, 0, v25, vcc_lo
	v_cmp_nlt_f32_e32 vcc_lo, 0x42b17218, v23
	v_cndmask_b32_e32 v23, 0x7f800000, v25, vcc_lo
	s_delay_alu instid0(VALU_DEP_1)
	v_mul_f32_e32 v19, v19, v23
	s_cbranch_scc0 .LBB0_17
; %bb.16:                               ;   in Loop: Header=BB0_4 Depth=1
	v_mov_b32_e32 v23, v21
	s_branch .LBB0_4
.LBB0_17:
	v_mov_b32_e32 v8, 0
	s_and_not1_b32 vcc_lo, exec_lo, s13
	s_cbranch_vccnz .LBB0_20
; %bb.18:
	v_mov_b32_e32 v8, 0
	s_movk_i32 s0, 0xe000
	s_mov_b32 s1, s14
.LBB0_19:                               ; =>This Inner Loop Header: Depth=1
	v_add_nc_u32_e32 v9, s0, v22
	v_add_nc_u32_e32 v20, 0xfffff800, v20
	s_add_co_i32 s1, s1, -8
	s_addk_co_i32 s0, 0xe000
	s_cmp_lg_u32 s1, 0
	ds_load_2addr_stride64_b32 v[24:25], v9 offset0:24 offset1:28
	ds_load_2addr_stride64_b32 v[26:27], v9 offset0:16 offset1:20
	;; [unrolled: 1-line block ×3, first 2 shown]
	s_wait_dscnt 0x2
	v_dual_sub_f32 v23, v25, v19 :: v_dual_sub_f32 v30, v24, v19
	ds_load_2addr_stride64_b32 v[24:25], v9 offset1:4
	s_wait_dscnt 0x2
	v_sub_f32_e32 v9, v27, v19
	v_dual_max_num_f32 v23, 0, v23 :: v_dual_max_num_f32 v27, 0, v30
	s_delay_alu instid0(VALU_DEP_1) | instskip(SKIP_2) | instid1(VALU_DEP_1)
	v_dual_max_num_f32 v9, 0, v9 :: v_dual_add_f32 v8, v8, v23
	s_wait_dscnt 0x1
	v_dual_sub_f32 v23, v26, v19 :: v_dual_sub_f32 v26, v29, v19
	v_dual_add_f32 v8, v8, v27 :: v_dual_max_num_f32 v26, 0, v26
	s_delay_alu instid0(VALU_DEP_1) | instskip(SKIP_3) | instid1(VALU_DEP_3)
	v_dual_max_num_f32 v23, 0, v23 :: v_dual_add_f32 v8, v8, v9
	v_sub_f32_e32 v9, v28, v19
	s_wait_dscnt 0x0
	v_sub_f32_e32 v24, v24, v19
	v_add_f32_e32 v8, v8, v23
	s_delay_alu instid0(VALU_DEP_3) | instskip(NEXT) | instid1(VALU_DEP_1)
	v_dual_sub_f32 v23, v25, v19 :: v_dual_max_num_f32 v9, 0, v9
	v_dual_add_f32 v8, v8, v26 :: v_dual_max_num_f32 v23, 0, v23
	s_delay_alu instid0(VALU_DEP_1) | instskip(NEXT) | instid1(VALU_DEP_1)
	v_dual_add_f32 v8, v8, v9 :: v_dual_max_num_f32 v9, 0, v24
	v_add_f32_e32 v8, v8, v23
	s_delay_alu instid0(VALU_DEP_1)
	v_add_f32_e32 v8, v8, v9
	s_cbranch_scc1 .LBB0_19
.LBB0_20:
	s_and_not1_b32 vcc_lo, exec_lo, s15
	s_cbranch_vccnz .LBB0_23
; %bb.21:
	v_lshl_add_u32 v9, v20, 2, 0xfffffc00
	s_mov_b32 s0, s11
.LBB0_22:                               ; =>This Inner Loop Header: Depth=1
	ds_load_b32 v20, v9
	s_add_co_i32 s0, s0, -1
	v_add_nc_u32_e32 v9, 0xfffffc00, v9
	s_cmp_lg_u32 s0, 0
	s_wait_dscnt 0x0
	v_sub_f32_e32 v20, v20, v19
	s_delay_alu instid0(VALU_DEP_1) | instskip(NEXT) | instid1(VALU_DEP_1)
	v_max_num_f32_e32 v20, 0, v20
	v_add_f32_e32 v8, v8, v20
	s_cbranch_scc1 .LBB0_22
.LBB0_23:
	s_delay_alu instid0(VALU_DEP_1) | instskip(SKIP_2) | instid1(SALU_CYCLE_1)
	v_sub_f32_e32 v9, v8, v14
	s_cvt_f32_u32 s0, s12
	s_add_co_i32 s12, s12, 1
	s_cmp_eq_u32 s12, 0x201
	s_delay_alu instid0(VALU_DEP_1) | instid1(SALU_CYCLE_1)
	v_div_scale_f32 v19, null, s0, s0, v9
	s_delay_alu instid0(VALU_DEP_1) | instskip(SKIP_1) | instid1(TRANS32_DEP_1)
	v_rcp_f32_e32 v20, v19
	v_nop
	v_fma_f32 v22, -v19, v20, 1.0
	s_delay_alu instid0(VALU_DEP_1) | instskip(SKIP_1) | instid1(VALU_DEP_1)
	v_fmac_f32_e32 v20, v22, v20
	v_div_scale_f32 v23, vcc_lo, v9, s0, v9
	v_mul_f32_e32 v22, v23, v20
	s_delay_alu instid0(VALU_DEP_1) | instskip(NEXT) | instid1(VALU_DEP_1)
	v_fma_f32 v24, -v19, v22, v23
	v_fmac_f32_e32 v22, v24, v20
	s_delay_alu instid0(VALU_DEP_1) | instskip(NEXT) | instid1(VALU_DEP_1)
	v_fma_f32 v19, -v19, v22, v23
	v_div_fmas_f32 v19, v19, v20, v22
	s_delay_alu instid0(VALU_DEP_1) | instskip(NEXT) | instid1(VALU_DEP_1)
	v_div_fixup_f32 v19, v19, s0, v9
	v_add_f32_e32 v14, v14, v19
	s_delay_alu instid0(VALU_DEP_1) | instskip(NEXT) | instid1(VALU_DEP_1)
	v_sub_f32_e32 v8, v8, v14
	v_fmac_f32_e32 v15, v9, v8
	s_cbranch_scc0 .LBB0_1
; %bb.24:
	s_wait_loadcnt 0x2
	s_delay_alu instid0(VALU_DEP_1) | instskip(SKIP_1) | instid1(VALU_DEP_2)
	v_div_scale_f32 v4, null, 0x43ff8000, 0x43ff8000, v15
	v_div_scale_f32 v6, vcc_lo, v15, 0x43ff8000, v15
	v_rcp_f32_e32 v5, v4
	v_nop
	s_delay_alu instid0(TRANS32_DEP_1) | instskip(NEXT) | instid1(VALU_DEP_1)
	v_fma_f32 v0, -v4, v5, 1.0
	v_fmac_f32_e32 v5, v0, v5
	s_delay_alu instid0(VALU_DEP_1) | instskip(NEXT) | instid1(VALU_DEP_1)
	v_mul_f32_e32 v7, v6, v5
	v_fma_f32 v0, -v4, v7, v6
	s_delay_alu instid0(VALU_DEP_1) | instskip(SKIP_2) | instid1(VALU_DEP_2)
	v_fmac_f32_e32 v7, v0, v5
	v_lshlrev_b64_e32 v[0:1], 2, v[2:3]
	s_wait_xcnt 0x0
	v_fma_f32 v2, -v4, v7, v6
	s_delay_alu instid0(VALU_DEP_1) | instskip(NEXT) | instid1(VALU_DEP_3)
	v_div_fmas_f32 v4, v2, v5, v7
	v_add_nc_u64_e32 v[2:3], s[6:7], v[0:1]
	v_add_nc_u64_e32 v[0:1], s[8:9], v[0:1]
	s_delay_alu instid0(VALU_DEP_3)
	v_div_fixup_f32 v4, v4, 0x43ff8000, v15
	global_store_b32 v[2:3], v14, off
	global_store_b32 v[0:1], v4, off
	s_endpgm
	.section	.rodata,"a",@progbits
	.p2align	6, 0x0
	.amdhsa_kernel _Z19tausworthe_lookbackjPKjPfS1_PKfS3_S3_S3_S3_S3_S3_
		.amdhsa_group_segment_fixed_size 15360
		.amdhsa_private_segment_fixed_size 0
		.amdhsa_kernarg_size 344
		.amdhsa_user_sgpr_count 2
		.amdhsa_user_sgpr_dispatch_ptr 0
		.amdhsa_user_sgpr_queue_ptr 0
		.amdhsa_user_sgpr_kernarg_segment_ptr 1
		.amdhsa_user_sgpr_dispatch_id 0
		.amdhsa_user_sgpr_kernarg_preload_length 0
		.amdhsa_user_sgpr_kernarg_preload_offset 0
		.amdhsa_user_sgpr_private_segment_size 0
		.amdhsa_wavefront_size32 1
		.amdhsa_uses_dynamic_stack 0
		.amdhsa_enable_private_segment 0
		.amdhsa_system_sgpr_workgroup_id_x 1
		.amdhsa_system_sgpr_workgroup_id_y 0
		.amdhsa_system_sgpr_workgroup_id_z 0
		.amdhsa_system_sgpr_workgroup_info 0
		.amdhsa_system_vgpr_workitem_id 0
		.amdhsa_next_free_vgpr 46
		.amdhsa_next_free_sgpr 24
		.amdhsa_named_barrier_count 0
		.amdhsa_reserve_vcc 1
		.amdhsa_float_round_mode_32 0
		.amdhsa_float_round_mode_16_64 0
		.amdhsa_float_denorm_mode_32 3
		.amdhsa_float_denorm_mode_16_64 3
		.amdhsa_fp16_overflow 0
		.amdhsa_memory_ordered 1
		.amdhsa_forward_progress 1
		.amdhsa_inst_pref_size 31
		.amdhsa_round_robin_scheduling 0
		.amdhsa_exception_fp_ieee_invalid_op 0
		.amdhsa_exception_fp_denorm_src 0
		.amdhsa_exception_fp_ieee_div_zero 0
		.amdhsa_exception_fp_ieee_overflow 0
		.amdhsa_exception_fp_ieee_underflow 0
		.amdhsa_exception_fp_ieee_inexact 0
		.amdhsa_exception_int_div_zero 0
	.end_amdhsa_kernel
	.text
.Lfunc_end0:
	.size	_Z19tausworthe_lookbackjPKjPfS1_PKfS3_S3_S3_S3_S3_S3_, .Lfunc_end0-_Z19tausworthe_lookbackjPKjPfS1_PKfS3_S3_S3_S3_S3_S3_
                                        ; -- End function
	.set _Z19tausworthe_lookbackjPKjPfS1_PKfS3_S3_S3_S3_S3_S3_.num_vgpr, 46
	.set _Z19tausworthe_lookbackjPKjPfS1_PKfS3_S3_S3_S3_S3_S3_.num_agpr, 0
	.set _Z19tausworthe_lookbackjPKjPfS1_PKfS3_S3_S3_S3_S3_S3_.numbered_sgpr, 24
	.set _Z19tausworthe_lookbackjPKjPfS1_PKfS3_S3_S3_S3_S3_S3_.num_named_barrier, 0
	.set _Z19tausworthe_lookbackjPKjPfS1_PKfS3_S3_S3_S3_S3_S3_.private_seg_size, 0
	.set _Z19tausworthe_lookbackjPKjPfS1_PKfS3_S3_S3_S3_S3_S3_.uses_vcc, 1
	.set _Z19tausworthe_lookbackjPKjPfS1_PKfS3_S3_S3_S3_S3_S3_.uses_flat_scratch, 0
	.set _Z19tausworthe_lookbackjPKjPfS1_PKfS3_S3_S3_S3_S3_S3_.has_dyn_sized_stack, 0
	.set _Z19tausworthe_lookbackjPKjPfS1_PKfS3_S3_S3_S3_S3_S3_.has_recursion, 0
	.set _Z19tausworthe_lookbackjPKjPfS1_PKfS3_S3_S3_S3_S3_S3_.has_indirect_call, 0
	.section	.AMDGPU.csdata,"",@progbits
; Kernel info:
; codeLenInByte = 3904
; TotalNumSgprs: 26
; NumVgprs: 46
; ScratchSize: 0
; MemoryBound: 0
; FloatMode: 240
; IeeeMode: 1
; LDSByteSize: 15360 bytes/workgroup (compile time only)
; SGPRBlocks: 0
; VGPRBlocks: 2
; NumSGPRsForWavesPerEU: 26
; NumVGPRsForWavesPerEU: 46
; NamedBarCnt: 0
; Occupancy: 16
; WaveLimiterHint : 0
; COMPUTE_PGM_RSRC2:SCRATCH_EN: 0
; COMPUTE_PGM_RSRC2:USER_SGPR: 2
; COMPUTE_PGM_RSRC2:TRAP_HANDLER: 0
; COMPUTE_PGM_RSRC2:TGID_X_EN: 1
; COMPUTE_PGM_RSRC2:TGID_Y_EN: 0
; COMPUTE_PGM_RSRC2:TGID_Z_EN: 0
; COMPUTE_PGM_RSRC2:TIDIG_COMP_CNT: 0
	.text
	.p2alignl 7, 3214868480
	.fill 96, 4, 3214868480
	.section	.AMDGPU.gpr_maximums,"",@progbits
	.set amdgpu.max_num_vgpr, 0
	.set amdgpu.max_num_agpr, 0
	.set amdgpu.max_num_sgpr, 0
	.text
	.type	__hip_cuid_68ee2525c4e1e2a0,@object ; @__hip_cuid_68ee2525c4e1e2a0
	.section	.bss,"aw",@nobits
	.globl	__hip_cuid_68ee2525c4e1e2a0
__hip_cuid_68ee2525c4e1e2a0:
	.byte	0                               ; 0x0
	.size	__hip_cuid_68ee2525c4e1e2a0, 1

	.ident	"AMD clang version 22.0.0git (https://github.com/RadeonOpenCompute/llvm-project roc-7.2.4 26084 f58b06dce1f9c15707c5f808fd002e18c2accf7e)"
	.section	".note.GNU-stack","",@progbits
	.addrsig
	.addrsig_sym __hip_cuid_68ee2525c4e1e2a0
	.amdgpu_metadata
---
amdhsa.kernels:
  - .args:
      - .offset:         0
        .size:           4
        .value_kind:     by_value
      - .actual_access:  read_only
        .address_space:  global
        .offset:         8
        .size:           8
        .value_kind:     global_buffer
      - .actual_access:  write_only
        .address_space:  global
        .offset:         16
        .size:           8
        .value_kind:     global_buffer
      - .actual_access:  write_only
        .address_space:  global
        .offset:         24
        .size:           8
        .value_kind:     global_buffer
      - .actual_access:  read_only
        .address_space:  global
        .offset:         32
        .size:           8
        .value_kind:     global_buffer
      - .actual_access:  read_only
        .address_space:  global
        .offset:         40
        .size:           8
        .value_kind:     global_buffer
      - .actual_access:  read_only
        .address_space:  global
        .offset:         48
        .size:           8
        .value_kind:     global_buffer
      - .actual_access:  read_only
        .address_space:  global
        .offset:         56
        .size:           8
        .value_kind:     global_buffer
      - .actual_access:  read_only
        .address_space:  global
        .offset:         64
        .size:           8
        .value_kind:     global_buffer
      - .actual_access:  read_only
        .address_space:  global
        .offset:         72
        .size:           8
        .value_kind:     global_buffer
      - .actual_access:  read_only
        .address_space:  global
        .offset:         80
        .size:           8
        .value_kind:     global_buffer
      - .offset:         88
        .size:           4
        .value_kind:     hidden_block_count_x
      - .offset:         92
        .size:           4
        .value_kind:     hidden_block_count_y
      - .offset:         96
        .size:           4
        .value_kind:     hidden_block_count_z
      - .offset:         100
        .size:           2
        .value_kind:     hidden_group_size_x
      - .offset:         102
        .size:           2
        .value_kind:     hidden_group_size_y
      - .offset:         104
        .size:           2
        .value_kind:     hidden_group_size_z
      - .offset:         106
        .size:           2
        .value_kind:     hidden_remainder_x
      - .offset:         108
        .size:           2
        .value_kind:     hidden_remainder_y
      - .offset:         110
        .size:           2
        .value_kind:     hidden_remainder_z
      - .offset:         128
        .size:           8
        .value_kind:     hidden_global_offset_x
      - .offset:         136
        .size:           8
        .value_kind:     hidden_global_offset_y
      - .offset:         144
        .size:           8
        .value_kind:     hidden_global_offset_z
      - .offset:         152
        .size:           2
        .value_kind:     hidden_grid_dims
    .group_segment_fixed_size: 15360
    .kernarg_segment_align: 8
    .kernarg_segment_size: 344
    .language:       OpenCL C
    .language_version:
      - 2
      - 0
    .max_flat_workgroup_size: 1024
    .name:           _Z19tausworthe_lookbackjPKjPfS1_PKfS3_S3_S3_S3_S3_S3_
    .private_segment_fixed_size: 0
    .sgpr_count:     26
    .sgpr_spill_count: 0
    .symbol:         _Z19tausworthe_lookbackjPKjPfS1_PKfS3_S3_S3_S3_S3_S3_.kd
    .uniform_work_group_size: 1
    .uses_dynamic_stack: false
    .vgpr_count:     46
    .vgpr_spill_count: 0
    .wavefront_size: 32
amdhsa.target:   amdgcn-amd-amdhsa--gfx1250
amdhsa.version:
  - 1
  - 2
...

	.end_amdgpu_metadata
